;; amdgpu-corpus repo=ROCm/rocFFT kind=compiled arch=gfx1030 opt=O3
	.text
	.amdgcn_target "amdgcn-amd-amdhsa--gfx1030"
	.amdhsa_code_object_version 6
	.protected	fft_rtc_fwd_len1296_factors_6_6_6_6_wgs_108_tpt_108_halfLds_half_op_CI_CI_unitstride_sbrr_R2C_dirReg ; -- Begin function fft_rtc_fwd_len1296_factors_6_6_6_6_wgs_108_tpt_108_halfLds_half_op_CI_CI_unitstride_sbrr_R2C_dirReg
	.globl	fft_rtc_fwd_len1296_factors_6_6_6_6_wgs_108_tpt_108_halfLds_half_op_CI_CI_unitstride_sbrr_R2C_dirReg
	.p2align	8
	.type	fft_rtc_fwd_len1296_factors_6_6_6_6_wgs_108_tpt_108_halfLds_half_op_CI_CI_unitstride_sbrr_R2C_dirReg,@function
fft_rtc_fwd_len1296_factors_6_6_6_6_wgs_108_tpt_108_halfLds_half_op_CI_CI_unitstride_sbrr_R2C_dirReg: ; @fft_rtc_fwd_len1296_factors_6_6_6_6_wgs_108_tpt_108_halfLds_half_op_CI_CI_unitstride_sbrr_R2C_dirReg
; %bb.0:
	s_clause 0x2
	s_load_dwordx4 s[12:15], s[4:5], 0x0
	s_load_dwordx4 s[8:11], s[4:5], 0x58
	;; [unrolled: 1-line block ×3, first 2 shown]
	v_mul_u32_u24_e32 v1, 0x25f, v0
	v_mov_b32_e32 v3, 0
	v_mov_b32_e32 v8, 0
	;; [unrolled: 1-line block ×3, first 2 shown]
	v_add_nc_u32_sdwa v10, s6, v1 dst_sel:DWORD dst_unused:UNUSED_PAD src0_sel:DWORD src1_sel:WORD_1
	v_mov_b32_e32 v11, v3
	s_waitcnt lgkmcnt(0)
	v_cmp_lt_u64_e64 s0, s[14:15], 2
	s_and_b32 vcc_lo, exec_lo, s0
	s_cbranch_vccnz .LBB0_8
; %bb.1:
	s_load_dwordx2 s[0:1], s[4:5], 0x10
	v_mov_b32_e32 v8, 0
	v_mov_b32_e32 v9, 0
	s_add_u32 s2, s18, 8
	s_addc_u32 s3, s19, 0
	v_mov_b32_e32 v1, v8
	s_add_u32 s6, s16, 8
	v_mov_b32_e32 v2, v9
	s_addc_u32 s7, s17, 0
	s_mov_b64 s[22:23], 1
	s_waitcnt lgkmcnt(0)
	s_add_u32 s20, s0, 8
	s_addc_u32 s21, s1, 0
.LBB0_2:                                ; =>This Inner Loop Header: Depth=1
	s_load_dwordx2 s[24:25], s[20:21], 0x0
                                        ; implicit-def: $vgpr5_vgpr6
	s_mov_b32 s0, exec_lo
	s_waitcnt lgkmcnt(0)
	v_or_b32_e32 v4, s25, v11
	v_cmpx_ne_u64_e32 0, v[3:4]
	s_xor_b32 s1, exec_lo, s0
	s_cbranch_execz .LBB0_4
; %bb.3:                                ;   in Loop: Header=BB0_2 Depth=1
	v_cvt_f32_u32_e32 v4, s24
	v_cvt_f32_u32_e32 v5, s25
	s_sub_u32 s0, 0, s24
	s_subb_u32 s26, 0, s25
	v_fmac_f32_e32 v4, 0x4f800000, v5
	v_rcp_f32_e32 v4, v4
	v_mul_f32_e32 v4, 0x5f7ffffc, v4
	v_mul_f32_e32 v5, 0x2f800000, v4
	v_trunc_f32_e32 v5, v5
	v_fmac_f32_e32 v4, 0xcf800000, v5
	v_cvt_u32_f32_e32 v5, v5
	v_cvt_u32_f32_e32 v4, v4
	v_mul_lo_u32 v6, s0, v5
	v_mul_hi_u32 v7, s0, v4
	v_mul_lo_u32 v12, s26, v4
	v_add_nc_u32_e32 v6, v7, v6
	v_mul_lo_u32 v7, s0, v4
	v_add_nc_u32_e32 v6, v6, v12
	v_mul_hi_u32 v12, v4, v7
	v_mul_lo_u32 v13, v4, v6
	v_mul_hi_u32 v14, v4, v6
	v_mul_hi_u32 v15, v5, v7
	v_mul_lo_u32 v7, v5, v7
	v_mul_hi_u32 v16, v5, v6
	v_mul_lo_u32 v6, v5, v6
	v_add_co_u32 v12, vcc_lo, v12, v13
	v_add_co_ci_u32_e32 v13, vcc_lo, 0, v14, vcc_lo
	v_add_co_u32 v7, vcc_lo, v12, v7
	v_add_co_ci_u32_e32 v7, vcc_lo, v13, v15, vcc_lo
	v_add_co_ci_u32_e32 v12, vcc_lo, 0, v16, vcc_lo
	v_add_co_u32 v6, vcc_lo, v7, v6
	v_add_co_ci_u32_e32 v7, vcc_lo, 0, v12, vcc_lo
	v_add_co_u32 v4, vcc_lo, v4, v6
	v_add_co_ci_u32_e32 v5, vcc_lo, v5, v7, vcc_lo
	v_mul_hi_u32 v6, s0, v4
	v_mul_lo_u32 v12, s26, v4
	v_mul_lo_u32 v7, s0, v5
	v_add_nc_u32_e32 v6, v6, v7
	v_mul_lo_u32 v7, s0, v4
	v_add_nc_u32_e32 v6, v6, v12
	v_mul_hi_u32 v12, v4, v7
	v_mul_lo_u32 v13, v4, v6
	v_mul_hi_u32 v14, v4, v6
	v_mul_hi_u32 v15, v5, v7
	v_mul_lo_u32 v7, v5, v7
	v_mul_hi_u32 v16, v5, v6
	v_mul_lo_u32 v6, v5, v6
	v_add_co_u32 v12, vcc_lo, v12, v13
	v_add_co_ci_u32_e32 v13, vcc_lo, 0, v14, vcc_lo
	v_add_co_u32 v7, vcc_lo, v12, v7
	v_add_co_ci_u32_e32 v7, vcc_lo, v13, v15, vcc_lo
	v_add_co_ci_u32_e32 v12, vcc_lo, 0, v16, vcc_lo
	v_add_co_u32 v6, vcc_lo, v7, v6
	v_add_co_ci_u32_e32 v7, vcc_lo, 0, v12, vcc_lo
	v_add_co_u32 v6, vcc_lo, v4, v6
	v_add_co_ci_u32_e32 v12, vcc_lo, v5, v7, vcc_lo
	v_mul_hi_u32 v14, v10, v6
	v_mad_u64_u32 v[6:7], null, v11, v6, 0
	v_mad_u64_u32 v[4:5], null, v10, v12, 0
	;; [unrolled: 1-line block ×3, first 2 shown]
	v_add_co_u32 v4, vcc_lo, v14, v4
	v_add_co_ci_u32_e32 v5, vcc_lo, 0, v5, vcc_lo
	v_add_co_u32 v4, vcc_lo, v4, v6
	v_add_co_ci_u32_e32 v4, vcc_lo, v5, v7, vcc_lo
	v_add_co_ci_u32_e32 v5, vcc_lo, 0, v13, vcc_lo
	v_add_co_u32 v7, vcc_lo, v4, v12
	v_add_co_ci_u32_e32 v6, vcc_lo, 0, v5, vcc_lo
	v_mul_lo_u32 v12, s25, v7
	v_mad_u64_u32 v[4:5], null, s24, v7, 0
	v_mul_lo_u32 v13, s24, v6
	v_sub_co_u32 v4, vcc_lo, v10, v4
	v_add3_u32 v5, v5, v13, v12
	v_sub_nc_u32_e32 v12, v11, v5
	v_subrev_co_ci_u32_e64 v12, s0, s25, v12, vcc_lo
	v_add_co_u32 v13, s0, v7, 2
	v_add_co_ci_u32_e64 v14, s0, 0, v6, s0
	v_sub_co_u32 v15, s0, v4, s24
	v_sub_co_ci_u32_e32 v5, vcc_lo, v11, v5, vcc_lo
	v_subrev_co_ci_u32_e64 v12, s0, 0, v12, s0
	v_cmp_le_u32_e32 vcc_lo, s24, v15
	v_cmp_eq_u32_e64 s0, s25, v5
	v_cndmask_b32_e64 v15, 0, -1, vcc_lo
	v_cmp_le_u32_e32 vcc_lo, s25, v12
	v_cndmask_b32_e64 v16, 0, -1, vcc_lo
	v_cmp_le_u32_e32 vcc_lo, s24, v4
	;; [unrolled: 2-line block ×3, first 2 shown]
	v_cndmask_b32_e64 v17, 0, -1, vcc_lo
	v_cmp_eq_u32_e32 vcc_lo, s25, v12
	v_cndmask_b32_e64 v4, v17, v4, s0
	v_cndmask_b32_e32 v12, v16, v15, vcc_lo
	v_add_co_u32 v15, vcc_lo, v7, 1
	v_add_co_ci_u32_e32 v16, vcc_lo, 0, v6, vcc_lo
	v_cmp_ne_u32_e32 vcc_lo, 0, v12
	v_cndmask_b32_e32 v5, v16, v14, vcc_lo
	v_cndmask_b32_e32 v12, v15, v13, vcc_lo
	v_cmp_ne_u32_e32 vcc_lo, 0, v4
	v_cndmask_b32_e32 v6, v6, v5, vcc_lo
	v_cndmask_b32_e32 v5, v7, v12, vcc_lo
.LBB0_4:                                ;   in Loop: Header=BB0_2 Depth=1
	s_andn2_saveexec_b32 s0, s1
	s_cbranch_execz .LBB0_6
; %bb.5:                                ;   in Loop: Header=BB0_2 Depth=1
	v_cvt_f32_u32_e32 v4, s24
	s_sub_i32 s1, 0, s24
	v_rcp_iflag_f32_e32 v4, v4
	v_mul_f32_e32 v4, 0x4f7ffffe, v4
	v_cvt_u32_f32_e32 v4, v4
	v_mul_lo_u32 v5, s1, v4
	v_mul_hi_u32 v5, v4, v5
	v_add_nc_u32_e32 v4, v4, v5
	v_mul_hi_u32 v4, v10, v4
	v_mul_lo_u32 v5, v4, s24
	v_add_nc_u32_e32 v6, 1, v4
	v_sub_nc_u32_e32 v5, v10, v5
	v_subrev_nc_u32_e32 v7, s24, v5
	v_cmp_le_u32_e32 vcc_lo, s24, v5
	v_cndmask_b32_e32 v5, v5, v7, vcc_lo
	v_cndmask_b32_e32 v4, v4, v6, vcc_lo
	v_cmp_le_u32_e32 vcc_lo, s24, v5
	v_add_nc_u32_e32 v6, 1, v4
	v_cndmask_b32_e32 v5, v4, v6, vcc_lo
	v_mov_b32_e32 v6, v3
.LBB0_6:                                ;   in Loop: Header=BB0_2 Depth=1
	s_or_b32 exec_lo, exec_lo, s0
	v_mul_lo_u32 v4, v6, s24
	v_mul_lo_u32 v7, v5, s25
	s_load_dwordx2 s[0:1], s[6:7], 0x0
	v_mad_u64_u32 v[12:13], null, v5, s24, 0
	s_load_dwordx2 s[24:25], s[2:3], 0x0
	s_add_u32 s22, s22, 1
	s_addc_u32 s23, s23, 0
	s_add_u32 s2, s2, 8
	s_addc_u32 s3, s3, 0
	s_add_u32 s6, s6, 8
	v_add3_u32 v4, v13, v7, v4
	v_sub_co_u32 v7, vcc_lo, v10, v12
	s_addc_u32 s7, s7, 0
	s_add_u32 s20, s20, 8
	v_sub_co_ci_u32_e32 v4, vcc_lo, v11, v4, vcc_lo
	s_addc_u32 s21, s21, 0
	s_waitcnt lgkmcnt(0)
	v_mul_lo_u32 v10, s0, v4
	v_mul_lo_u32 v11, s1, v7
	v_mad_u64_u32 v[8:9], null, s0, v7, v[8:9]
	v_mul_lo_u32 v4, s24, v4
	v_mul_lo_u32 v12, s25, v7
	v_mad_u64_u32 v[1:2], null, s24, v7, v[1:2]
	v_cmp_ge_u64_e64 s0, s[22:23], s[14:15]
	v_add3_u32 v9, v11, v9, v10
	v_add3_u32 v2, v12, v2, v4
	s_and_b32 vcc_lo, exec_lo, s0
	s_cbranch_vccnz .LBB0_9
; %bb.7:                                ;   in Loop: Header=BB0_2 Depth=1
	v_mov_b32_e32 v11, v6
	v_mov_b32_e32 v10, v5
	s_branch .LBB0_2
.LBB0_8:
	v_mov_b32_e32 v1, v8
	v_mov_b32_e32 v5, v10
	;; [unrolled: 1-line block ×4, first 2 shown]
.LBB0_9:
	s_load_dwordx2 s[0:1], s[4:5], 0x28
	v_mul_hi_u32 v4, 0x25ed098, v0
	s_lshl_b64 s[4:5], s[14:15], 3
                                        ; implicit-def: $vgpr3
                                        ; implicit-def: $vgpr7
	s_add_u32 s2, s18, s4
	s_addc_u32 s3, s19, s5
	s_waitcnt lgkmcnt(0)
	v_cmp_gt_u64_e32 vcc_lo, s[0:1], v[5:6]
	v_cmp_le_u64_e64 s0, s[0:1], v[5:6]
	s_and_saveexec_b32 s1, s0
	s_xor_b32 s0, exec_lo, s1
; %bb.10:
	v_mul_u32_u24_e32 v3, 0x6c, v4
                                        ; implicit-def: $vgpr4
                                        ; implicit-def: $vgpr8_vgpr9
	v_sub_nc_u32_e32 v3, v0, v3
                                        ; implicit-def: $vgpr0
	v_add_nc_u32_e32 v7, 0x6c, v3
; %bb.11:
	s_andn2_saveexec_b32 s1, s0
	s_cbranch_execz .LBB0_13
; %bb.12:
	s_add_u32 s4, s16, s4
	s_addc_u32 s5, s17, s5
	s_load_dwordx2 s[4:5], s[4:5], 0x0
	s_waitcnt lgkmcnt(0)
	v_mul_lo_u32 v3, s5, v5
	v_mul_lo_u32 v7, s4, v6
	v_mad_u64_u32 v[10:11], null, s4, v5, 0
	v_add3_u32 v11, v11, v7, v3
	v_mul_u32_u24_e32 v3, 0x6c, v4
	v_lshlrev_b64 v[7:8], 2, v[8:9]
	v_lshlrev_b64 v[10:11], 2, v[10:11]
	v_sub_nc_u32_e32 v3, v0, v3
	v_lshlrev_b32_e32 v13, 2, v3
	v_add_co_u32 v0, s0, s8, v10
	v_add_co_ci_u32_e64 v4, s0, s9, v11, s0
	v_add_co_u32 v0, s0, v0, v7
	v_add_co_ci_u32_e64 v4, s0, v4, v8, s0
	;; [unrolled: 2-line block ×5, first 2 shown]
	s_clause 0xb
	global_load_dword v0, v[7:8], off
	global_load_dword v4, v[7:8], off offset:432
	global_load_dword v14, v[7:8], off offset:864
	;; [unrolled: 1-line block ×11, first 2 shown]
	v_add_nc_u32_e32 v12, 0, v13
	v_add_nc_u32_e32 v7, 0x6c, v3
	;; [unrolled: 1-line block ×7, first 2 shown]
	s_waitcnt vmcnt(10)
	ds_write2_b32 v12, v0, v4 offset1:108
	s_waitcnt vmcnt(8)
	ds_write2_b32 v13, v14, v15 offset0:88 offset1:196
	s_waitcnt vmcnt(6)
	ds_write2_b32 v20, v8, v16 offset0:48 offset1:156
	;; [unrolled: 2-line block ×5, first 2 shown]
.LBB0_13:
	s_or_b32 exec_lo, exec_lo, s1
	v_lshlrev_b32_e32 v4, 2, v3
	s_load_dwordx2 s[2:3], s[2:3], 0x0
	s_waitcnt lgkmcnt(0)
	s_barrier
	buffer_gl0_inv
	v_add_nc_u32_e32 v0, 0, v4
	v_mov_b32_e32 v33, 5
	v_mov_b32_e32 v38, 0x90
	;; [unrolled: 1-line block ×3, first 2 shown]
	s_add_u32 s1, s12, 0x1428
	v_add_nc_u32_e32 v11, 0x200, v0
	v_add_nc_u32_e32 v12, 0x600, v0
	;; [unrolled: 1-line block ×5, first 2 shown]
	ds_read2_b32 v[8:9], v0 offset1:108
	ds_read2_b32 v[13:14], v11 offset0:88 offset1:196
	ds_read2_b32 v[15:16], v12 offset0:48 offset1:156
	;; [unrolled: 1-line block ×5, first 2 shown]
	v_mul_i32_i24_e32 v11, 6, v7
	s_waitcnt lgkmcnt(0)
	s_barrier
	buffer_gl0_inv
	s_addc_u32 s4, s13, 0
	v_lshl_add_u32 v12, v11, 2, 0
	v_mad_u32_u24 v11, v3, 20, v0
	s_mov_b32 s5, exec_lo
	v_pk_add_f16 v26, v13, v17
	v_pk_add_f16 v23, v9, v16
	;; [unrolled: 1-line block ×3, first 2 shown]
	v_pk_add_f16 v17, v17, v21 neg_lo:[0,1] neg_hi:[0,1]
	v_pk_add_f16 v24, v14, v18
	v_pk_add_f16 v29, v16, v20
	v_pk_add_f16 v16, v16, v20 neg_lo:[0,1] neg_hi:[0,1]
	v_pk_fma_f16 v13, v28, 0.5, v13 op_sel_hi:[1,0,1] neg_lo:[1,0,0] neg_hi:[1,0,0]
	v_pk_add_f16 v20, v23, v20
	v_pk_add_f16 v25, v8, v15
	;; [unrolled: 1-line block ×3, first 2 shown]
	v_pk_add_f16 v15, v15, v19 neg_lo:[0,1] neg_hi:[0,1]
	v_pk_fma_f16 v23, 0x3aee, v17, v13 op_sel:[0,0,1] op_sel_hi:[0,1,0]
	v_pk_add_f16 v30, v18, v22
	v_pk_add_f16 v18, v18, v22 neg_lo:[0,1] neg_hi:[0,1]
	v_pk_add_f16 v22, v24, v22
	v_pk_fma_f16 v13, 0x3aee, v17, v13 op_sel:[0,0,1] op_sel_hi:[0,1,0] neg_lo:[0,1,0] neg_hi:[0,1,0]
	v_lshrrev_b32_e32 v24, 16, v23
	v_pk_fma_f16 v8, v27, 0.5, v8 op_sel_hi:[1,0,1] neg_lo:[1,0,0] neg_hi:[1,0,0]
	v_pk_mul_f16 v15, 0x3aee, v15 op_sel_hi:[0,1]
	v_pk_add_f16 v19, v25, v19
	v_bfi_b32 v23, 0xffff, v23, v13
	v_mul_f16_e32 v27, 0x3aee, v13
	v_mul_f16_e32 v28, 0xbaee, v24
	v_pk_add_f16 v21, v26, v21
	v_pk_fma_f16 v9, v29, 0.5, v9 op_sel_hi:[1,0,1] neg_lo:[1,0,0] neg_hi:[1,0,0]
	v_pk_fma_f16 v14, v30, 0.5, v14 op_sel_hi:[1,0,1] neg_lo:[1,0,0] neg_hi:[1,0,0]
	v_pk_add_f16 v26, v8, v15 op_sel:[0,1] op_sel_hi:[1,0]
	v_pk_mul_f16 v29, v23, 0.5 op_sel_hi:[1,0]
	v_pk_add_f16 v8, v8, v15 op_sel:[0,1] op_sel_hi:[1,0] neg_lo:[0,1] neg_hi:[0,1]
	v_fmac_f16_e32 v27, 0.5, v24
	v_fmac_f16_e32 v28, 0.5, v13
	v_pk_add_f16 v25, v19, v21
	v_pk_add_f16 v15, v19, v21 neg_lo:[0,1] neg_hi:[0,1]
	v_pk_fma_f16 v13, 0xbaee3aee, v23, v29 op_sel:[0,0,1] op_sel_hi:[1,1,0] neg_lo:[0,0,1] neg_hi:[0,0,1]
	v_pk_fma_f16 v19, 0x3aee, v18, v14 op_sel:[0,0,1] op_sel_hi:[0,1,0]
	v_bfi_b32 v21, 0xffff, v8, v26
	v_add_f16_e32 v23, v26, v27
	v_add_f16_sdwa v24, v8, v28 dst_sel:DWORD dst_unused:UNUSED_PAD src0_sel:WORD_1 src1_sel:DWORD
	v_pk_fma_f16 v14, 0x3aee, v18, v14 op_sel:[0,0,1] op_sel_hi:[0,1,0] neg_lo:[0,1,0] neg_hi:[0,1,0]
	v_pk_mul_f16 v16, 0x3aee, v16 op_sel_hi:[0,1]
	v_pk_add_f16 v18, v21, v13
	v_pack_b32_f16 v28, v28, v13
	v_pack_b32_f16 v21, v23, v24
	v_lshrrev_b32_e32 v24, 16, v19
	ds_write2_b32 v11, v18, v15 offset0:2 offset1:3
	ds_write2_b32 v11, v25, v21 offset1:1
	v_bfi_b32 v18, 0xffff, v19, v14
	v_mul_f16_e32 v19, 0xbaee, v24
	v_and_b32_e32 v25, 0xff, v3
	v_sub_f16_sdwa v13, v26, v13 dst_sel:DWORD dst_unused:UNUSED_PAD src0_sel:WORD_1 src1_sel:WORD_1
	v_pk_add_f16 v8, v8, v28 op_sel:[1,0] op_sel_hi:[0,1] neg_lo:[0,1] neg_hi:[0,1]
	v_sub_f16_e32 v23, v26, v27
	v_pk_add_f16 v15, v9, v16 op_sel:[0,1] op_sel_hi:[1,0]
	v_pk_add_f16 v9, v9, v16 op_sel:[0,1] op_sel_hi:[1,0] neg_lo:[0,1] neg_hi:[0,1]
	v_mul_f16_e32 v16, 0x3aee, v14
	v_pk_mul_f16 v21, v18, 0.5 op_sel_hi:[1,0]
	v_fmac_f16_e32 v19, 0.5, v14
	v_mul_lo_u16 v14, 0xab, v25
	v_alignbit_b32 v13, v13, v8, 16
	v_pack_b32_f16 v8, v23, v8
	v_fmac_f16_e32 v16, 0.5, v24
	v_pk_fma_f16 v18, 0xbaee3aee, v18, v21 op_sel:[0,0,1] op_sel_hi:[1,1,0] neg_lo:[0,0,1] neg_hi:[0,0,1]
	v_lshrrev_b16 v24, 10, v14
	v_and_b32_e32 v26, 0xff, v7
	ds_write2_b32 v11, v8, v13 offset0:4 offset1:5
	v_add_f16_e32 v8, v15, v16
	v_add_f16_sdwa v11, v9, v19 dst_sel:DWORD dst_unused:UNUSED_PAD src0_sel:WORD_1 src1_sel:DWORD
	v_sub_f16_e32 v14, v15, v16
	v_pack_b32_f16 v16, v19, v18
	v_mul_lo_u16 v19, v24, 6
	v_bfi_b32 v23, 0xffff, v9, v15
	v_pack_b32_f16 v8, v8, v11
	v_mul_lo_u16 v11, 0xab, v26
	v_sub_f16_sdwa v15, v15, v18 dst_sel:DWORD dst_unused:UNUSED_PAD src0_sel:WORD_1 src1_sel:WORD_1
	v_pk_add_f16 v9, v9, v16 op_sel:[1,0] op_sel_hi:[0,1] neg_lo:[0,1] neg_hi:[0,1]
	v_sub_nc_u16 v32, v3, v19
	v_pk_add_f16 v17, v20, v22
	v_lshrrev_b16 v34, 10, v11
	v_pk_add_f16 v13, v23, v18
	v_pk_add_f16 v16, v20, v22 neg_lo:[0,1] neg_hi:[0,1]
	v_alignbit_b32 v11, v15, v9, 16
	v_pack_b32_f16 v9, v14, v9
	v_mul_u32_u24_sdwa v14, v32, v33 dst_sel:DWORD dst_unused:UNUSED_PAD src0_sel:BYTE_0 src1_sel:DWORD
	ds_write2_b32 v12, v17, v8 offset1:1
	v_mul_lo_u16 v8, v34, 6
	ds_write2_b32 v12, v13, v16 offset0:2 offset1:3
	ds_write2_b32 v12, v9, v11 offset0:4 offset1:5
	s_waitcnt lgkmcnt(0)
	v_lshlrev_b32_e32 v9, 2, v14
	s_barrier
	v_sub_nc_u16 v35, v7, v8
	buffer_gl0_inv
	v_mad_i32_i24 v11, 0xffffffec, v7, v12
	global_load_dwordx4 v[16:19], v9, s[12:13]
	v_add_nc_u32_e32 v14, 0x400, v0
	v_mul_u32_u24_sdwa v8, v35, v33 dst_sel:DWORD dst_unused:UNUSED_PAD src0_sel:BYTE_0 src1_sel:DWORD
	v_add_nc_u32_e32 v13, 0xa00, v0
	v_add_nc_u32_e32 v15, 0xe00, v0
	v_mul_u32_u24_sdwa v42, v24, v38 dst_sel:DWORD dst_unused:UNUSED_PAD src0_sel:WORD_0 src1_sel:DWORD
	v_mul_u32_u24_sdwa v34, v34, v38 dst_sel:DWORD dst_unused:UNUSED_PAD src0_sel:WORD_0 src1_sel:DWORD
	v_lshlrev_b32_e32 v8, 2, v8
	s_clause 0x2
	global_load_dwordx4 v[20:23], v8, s[12:13]
	global_load_dword v36, v9, s[12:13] offset:16
	global_load_dword v37, v8, s[12:13] offset:16
	v_mul_lo_u16 v8, v25, 57
	v_lshlrev_b32_sdwa v32, v40, v32 dst_sel:DWORD dst_unused:UNUSED_PAD src0_sel:DWORD src1_sel:BYTE_0
	v_lshlrev_b32_sdwa v35, v40, v35 dst_sel:DWORD dst_unused:UNUSED_PAD src0_sel:DWORD src1_sel:BYTE_0
	v_lshrrev_b16 v39, 11, v8
	v_mul_lo_u16 v8, v26, 57
	v_add3_u32 v32, 0, v42, v32
	v_add3_u32 v34, 0, v34, v35
	v_mul_lo_u16 v9, v39, 36
	v_lshrrev_b16 v41, 11, v8
	v_sub_nc_u16 v43, v3, v9
	ds_read2_b32 v[8:9], v0 offset1:216
	ds_read_b32 v44, v11
	ds_read2_b32 v[24:25], v14 offset0:68 offset1:176
	ds_read2_b32 v[26:27], v10 offset0:28 offset1:136
	;; [unrolled: 1-line block ×4, first 2 shown]
	ds_read_b32 v45, v0 offset:4752
	v_mul_lo_u16 v38, v41, 36
	s_waitcnt vmcnt(0) lgkmcnt(0)
	s_barrier
	v_mul_u32_u24_sdwa v46, v43, v33 dst_sel:DWORD dst_unused:UNUSED_PAD src0_sel:BYTE_0 src1_sel:DWORD
	buffer_gl0_inv
	v_sub_nc_u16 v38, v7, v38
	v_lshlrev_b32_sdwa v43, v40, v43 dst_sel:DWORD dst_unused:UNUSED_PAD src0_sel:DWORD src1_sel:BYTE_0
	v_lshlrev_b32_e32 v35, 2, v46
	v_lshrrev_b32_e32 v52, 16, v9
	v_lshrrev_b32_e32 v42, 16, v8
	;; [unrolled: 1-line block ×12, first 2 shown]
	v_mul_f16_sdwa v57, v16, v9 dst_sel:DWORD dst_unused:UNUSED_PAD src0_sel:WORD_1 src1_sel:DWORD
	v_mul_f16_sdwa v59, v17, v25 dst_sel:DWORD dst_unused:UNUSED_PAD src0_sel:WORD_1 src1_sel:DWORD
	;; [unrolled: 1-line block ×5, first 2 shown]
	v_fmac_f16_e32 v57, v16, v52
	v_mul_f16_sdwa v52, v19, v29 dst_sel:DWORD dst_unused:UNUSED_PAD src0_sel:WORD_1 src1_sel:DWORD
	v_fmac_f16_e32 v59, v17, v53
	v_mul_f16_sdwa v53, v18, v54 dst_sel:DWORD dst_unused:UNUSED_PAD src0_sel:WORD_1 src1_sel:DWORD
	;; [unrolled: 2-line block ×3, first 2 shown]
	v_fmac_f16_e32 v52, v19, v55
	v_mul_f16_sdwa v55, v47, v20 dst_sel:DWORD dst_unused:UNUSED_PAD src0_sel:DWORD src1_sel:WORD_1
	v_fma_f16 v9, v16, v9, -v58
	v_fma_f16 v16, v17, v25, -v60
	;; [unrolled: 1-line block ×4, first 2 shown]
	v_mul_f16_sdwa v19, v36, v56 dst_sel:DWORD dst_unused:UNUSED_PAD src0_sel:WORD_1 src1_sel:DWORD
	v_mul_f16_sdwa v25, v36, v31 dst_sel:DWORD dst_unused:UNUSED_PAD src0_sel:WORD_1 src1_sel:DWORD
	v_mul_f16_sdwa v27, v48, v21 dst_sel:DWORD dst_unused:UNUSED_PAD src0_sel:DWORD src1_sel:WORD_1
	v_mul_f16_sdwa v29, v24, v20 dst_sel:DWORD dst_unused:UNUSED_PAD src0_sel:DWORD src1_sel:WORD_1
	v_fma_f16 v24, v24, v20, -v55
	v_mul_f16_sdwa v53, v26, v21 dst_sel:DWORD dst_unused:UNUSED_PAD src0_sel:DWORD src1_sel:WORD_1
	v_mul_f16_sdwa v54, v49, v22 dst_sel:DWORD dst_unused:UNUSED_PAD src0_sel:DWORD src1_sel:WORD_1
	v_fma_f16 v26, v26, v21, -v27
	v_mul_f16_sdwa v27, v28, v22 dst_sel:DWORD dst_unused:UNUSED_PAD src0_sel:DWORD src1_sel:WORD_1
	v_mul_f16_sdwa v55, v50, v23 dst_sel:DWORD dst_unused:UNUSED_PAD src0_sel:DWORD src1_sel:WORD_1
	v_fmac_f16_e32 v25, v36, v56
	v_mul_f16_sdwa v56, v30, v23 dst_sel:DWORD dst_unused:UNUSED_PAD src0_sel:DWORD src1_sel:WORD_1
	v_fma_f16 v19, v36, v31, -v19
	v_mul_f16_sdwa v31, v51, v37 dst_sel:DWORD dst_unused:UNUSED_PAD src0_sel:DWORD src1_sel:WORD_1
	v_fmac_f16_e32 v29, v47, v20
	v_mul_f16_sdwa v20, v45, v37 dst_sel:DWORD dst_unused:UNUSED_PAD src0_sel:DWORD src1_sel:WORD_1
	v_fmac_f16_e32 v53, v48, v21
	v_fma_f16 v21, v28, v22, -v54
	v_fmac_f16_e32 v27, v49, v22
	v_fma_f16 v22, v30, v23, -v55
	;; [unrolled: 2-line block ×3, first 2 shown]
	v_fmac_f16_e32 v20, v51, v37
	v_add_f16_e32 v28, v8, v16
	v_add_f16_e32 v30, v16, v18
	v_add_f16_e32 v37, v59, v52
	v_add_f16_e32 v47, v17, v19
	v_add_f16_e32 v50, v61, v25
	v_add_f16_e32 v36, v42, v59
	v_sub_f16_e32 v16, v16, v18
	v_add_f16_e32 v45, v9, v17
	v_add_f16_e32 v49, v57, v61
	v_sub_f16_e32 v55, v53, v56
	v_add_f16_e32 v58, v46, v53
	v_add_f16_e32 v53, v53, v56
	;; [unrolled: 1-line block ×4, first 2 shown]
	v_sub_f16_e32 v28, v27, v20
	v_fmac_f16_e32 v8, -0.5, v30
	v_add_f16_e32 v30, v29, v27
	v_add_f16_e32 v27, v27, v20
	v_sub_f16_e32 v31, v59, v52
	v_sub_f16_e32 v48, v61, v25
	;; [unrolled: 1-line block ×3, first 2 shown]
	v_add_f16_e32 v51, v44, v26
	v_add_f16_e32 v59, v24, v21
	v_fmac_f16_e32 v42, -0.5, v37
	v_fmac_f16_e32 v9, -0.5, v47
	;; [unrolled: 1-line block ×3, first 2 shown]
	v_add_f16_e32 v54, v26, v22
	v_sub_f16_e32 v26, v26, v22
	v_sub_f16_e32 v21, v21, v23
	v_add_f16_e32 v36, v36, v52
	v_add_f16_e32 v19, v45, v19
	;; [unrolled: 1-line block ×3, first 2 shown]
	v_fmac_f16_e32 v46, -0.5, v53
	v_fmac_f16_e32 v24, -0.5, v60
	;; [unrolled: 1-line block ×3, first 2 shown]
	v_add_f16_e32 v22, v51, v22
	v_add_f16_e32 v23, v59, v23
	;; [unrolled: 1-line block ×3, first 2 shown]
	v_fmamk_f16 v27, v31, 0x3aee, v8
	v_fmac_f16_e32 v8, 0xbaee, v31
	v_fmamk_f16 v30, v16, 0xbaee, v42
	v_fmac_f16_e32 v42, 0x3aee, v16
	v_fmamk_f16 v16, v48, 0x3aee, v9
	v_fmamk_f16 v31, v17, 0xbaee, v57
	v_add_f16_e32 v37, v58, v56
	v_fmac_f16_e32 v9, 0xbaee, v48
	v_fmac_f16_e32 v57, 0x3aee, v17
	v_add_f16_e32 v17, v18, v19
	v_add_f16_e32 v45, v36, v25
	v_sub_f16_e32 v18, v18, v19
	v_sub_f16_e32 v19, v36, v25
	v_fmamk_f16 v36, v26, 0xbaee, v46
	v_fmac_f16_e32 v46, 0x3aee, v26
	v_fmamk_f16 v26, v28, 0x3aee, v24
	v_fmac_f16_e32 v24, 0xbaee, v28
	;; [unrolled: 2-line block ×3, first 2 shown]
	v_add_f16_e32 v21, v22, v23
	v_sub_f16_e32 v22, v22, v23
	v_mul_f16_e32 v23, 0x3aee, v31
	v_mul_f16_e32 v48, 0xbaee, v16
	v_add_f16_e32 v47, v37, v20
	v_sub_f16_e32 v20, v37, v20
	v_mul_f16_e32 v37, -0.5, v9
	v_mul_f16_e32 v49, -0.5, v57
	v_fmac_f16_e32 v44, -0.5, v54
	v_mul_f16_e32 v50, 0x3aee, v28
	v_mul_f16_e32 v52, 0xbaee, v26
	v_mul_f16_e32 v51, -0.5, v24
	v_mul_f16_e32 v53, -0.5, v29
	v_fmac_f16_e32 v23, 0.5, v16
	v_fmac_f16_e32 v48, 0.5, v31
	v_fmac_f16_e32 v37, 0x3aee, v57
	v_fmac_f16_e32 v49, 0xbaee, v9
	v_fmamk_f16 v25, v55, 0x3aee, v44
	v_fmac_f16_e32 v50, 0.5, v26
	v_fmac_f16_e32 v52, 0.5, v28
	v_fmac_f16_e32 v44, 0xbaee, v55
	v_fmac_f16_e32 v51, 0x3aee, v29
	;; [unrolled: 1-line block ×3, first 2 shown]
	v_pack_b32_f16 v18, v18, v19
	v_pack_b32_f16 v19, v21, v47
	v_add_f16_e32 v9, v27, v23
	v_add_f16_e32 v21, v30, v48
	v_pack_b32_f16 v20, v22, v20
	v_add_f16_e32 v16, v8, v37
	v_add_f16_e32 v22, v42, v49
	v_sub_f16_e32 v23, v27, v23
	v_sub_f16_e32 v8, v8, v37
	;; [unrolled: 1-line block ×4, first 2 shown]
	v_add_f16_e32 v27, v25, v50
	v_add_f16_e32 v29, v36, v52
	;; [unrolled: 1-line block ×4, first 2 shown]
	v_pack_b32_f16 v17, v17, v45
	v_sub_f16_e32 v25, v25, v50
	v_sub_f16_e32 v31, v44, v51
	;; [unrolled: 1-line block ×4, first 2 shown]
	v_pack_b32_f16 v9, v9, v21
	v_pack_b32_f16 v16, v16, v22
	;; [unrolled: 1-line block ×8, first 2 shown]
	ds_write2_b32 v32, v17, v9 offset1:6
	ds_write2_b32 v32, v16, v18 offset0:12 offset1:18
	ds_write2_b32 v32, v21, v8 offset0:24 offset1:30
	ds_write2_b32 v34, v19, v22 offset1:6
	ds_write2_b32 v34, v23, v20 offset0:12 offset1:18
	ds_write2_b32 v34, v24, v25 offset0:24 offset1:30
	s_waitcnt lgkmcnt(0)
	s_barrier
	buffer_gl0_inv
	global_load_dwordx4 v[16:19], v35, s[12:13] offset:120
	v_mul_u32_u24_sdwa v8, v38, v33 dst_sel:DWORD dst_unused:UNUSED_PAD src0_sel:BYTE_0 src1_sel:DWORD
	v_mov_b32_e32 v34, 0x360
	v_mov_b32_e32 v9, 0
	v_lshlrev_b32_sdwa v38, v40, v38 dst_sel:DWORD dst_unused:UNUSED_PAD src0_sel:DWORD src1_sel:BYTE_0
	v_lshlrev_b32_e32 v8, 2, v8
	s_clause 0x2
	global_load_dword v36, v35, s[12:13] offset:136
	global_load_dwordx4 v[20:23], v8, s[12:13] offset:120
	global_load_dword v37, v8, s[12:13] offset:136
	ds_read2_b32 v[24:25], v0 offset1:216
	ds_read_b32 v42, v11
	ds_read2_b32 v[26:27], v14 offset0:68 offset1:176
	ds_read2_b32 v[28:29], v10 offset0:28 offset1:136
	;; [unrolled: 1-line block ×4, first 2 shown]
	ds_read_b32 v44, v0 offset:4752
	v_mul_u32_u24_e32 v35, 5, v3
	v_mul_i32_i24_e32 v8, 5, v7
	v_mul_u32_u24_sdwa v39, v39, v34 dst_sel:DWORD dst_unused:UNUSED_PAD src0_sel:WORD_0 src1_sel:DWORD
	v_mul_u32_u24_sdwa v41, v41, v34 dst_sel:DWORD dst_unused:UNUSED_PAD src0_sel:WORD_0 src1_sel:DWORD
	s_waitcnt vmcnt(0) lgkmcnt(0)
	v_lshlrev_b32_e32 v40, 2, v35
	v_lshlrev_b64 v[34:35], 2, v[8:9]
	v_add3_u32 v8, 0, v39, v43
	v_add3_u32 v38, 0, v41, v38
	s_barrier
	buffer_gl0_inv
	v_lshrrev_b32_e32 v49, 16, v25
	v_lshrrev_b32_e32 v39, 16, v24
	;; [unrolled: 1-line block ×12, first 2 shown]
	v_mul_f16_sdwa v55, v16, v25 dst_sel:DWORD dst_unused:UNUSED_PAD src0_sel:WORD_1 src1_sel:DWORD
	v_mul_f16_sdwa v54, v16, v49 dst_sel:DWORD dst_unused:UNUSED_PAD src0_sel:WORD_1 src1_sel:DWORD
	;; [unrolled: 1-line block ×5, first 2 shown]
	v_fmac_f16_e32 v55, v16, v49
	v_mul_f16_sdwa v49, v19, v31 dst_sel:DWORD dst_unused:UNUSED_PAD src0_sel:WORD_1 src1_sel:DWORD
	v_mul_f16_sdwa v58, v18, v51 dst_sel:DWORD dst_unused:UNUSED_PAD src0_sel:WORD_1 src1_sel:DWORD
	;; [unrolled: 1-line block ×3, first 2 shown]
	v_fmac_f16_e32 v57, v17, v50
	v_mul_f16_sdwa v50, v36, v53 dst_sel:DWORD dst_unused:UNUSED_PAD src0_sel:WORD_1 src1_sel:DWORD
	v_fmac_f16_e32 v59, v18, v51
	v_mul_f16_sdwa v51, v36, v33 dst_sel:DWORD dst_unused:UNUSED_PAD src0_sel:WORD_1 src1_sel:DWORD
	v_fmac_f16_e32 v49, v19, v52
	v_mul_f16_sdwa v52, v43, v20 dst_sel:DWORD dst_unused:UNUSED_PAD src0_sel:DWORD src1_sel:WORD_1
	v_fma_f16 v16, v16, v25, -v54
	v_mul_f16_sdwa v25, v26, v20 dst_sel:DWORD dst_unused:UNUSED_PAD src0_sel:DWORD src1_sel:WORD_1
	v_fma_f16 v17, v17, v27, -v56
	v_fma_f16 v18, v18, v29, -v58
	;; [unrolled: 1-line block ×3, first 2 shown]
	v_mul_f16_sdwa v27, v45, v21 dst_sel:DWORD dst_unused:UNUSED_PAD src0_sel:DWORD src1_sel:WORD_1
	v_mul_f16_sdwa v29, v28, v21 dst_sel:DWORD dst_unused:UNUSED_PAD src0_sel:DWORD src1_sel:WORD_1
	;; [unrolled: 1-line block ×3, first 2 shown]
	v_fma_f16 v26, v26, v20, -v52
	v_mul_f16_sdwa v52, v30, v22 dst_sel:DWORD dst_unused:UNUSED_PAD src0_sel:DWORD src1_sel:WORD_1
	v_mul_f16_sdwa v54, v47, v23 dst_sel:DWORD dst_unused:UNUSED_PAD src0_sel:DWORD src1_sel:WORD_1
	v_fmac_f16_e32 v51, v36, v53
	v_mul_f16_sdwa v53, v32, v23 dst_sel:DWORD dst_unused:UNUSED_PAD src0_sel:DWORD src1_sel:WORD_1
	v_fma_f16 v33, v36, v33, -v50
	v_mul_f16_sdwa v36, v48, v37 dst_sel:DWORD dst_unused:UNUSED_PAD src0_sel:DWORD src1_sel:WORD_1
	v_fmac_f16_e32 v25, v43, v20
	v_mul_f16_sdwa v20, v44, v37 dst_sel:DWORD dst_unused:UNUSED_PAD src0_sel:DWORD src1_sel:WORD_1
	v_fma_f16 v27, v28, v21, -v27
	v_fmac_f16_e32 v29, v45, v21
	v_fma_f16 v21, v30, v22, -v31
	v_fmac_f16_e32 v52, v46, v22
	;; [unrolled: 2-line block ×4, first 2 shown]
	v_add_f16_e32 v30, v17, v19
	v_add_f16_e32 v36, v57, v49
	;; [unrolled: 1-line block ×5, first 2 shown]
	v_sub_f16_e32 v31, v57, v49
	v_add_f16_e32 v32, v39, v57
	v_sub_f16_e32 v44, v59, v51
	v_add_f16_e32 v45, v55, v59
	;; [unrolled: 2-line block ×3, first 2 shown]
	v_add_f16_e32 v29, v29, v53
	v_add_f16_e32 v57, v21, v23
	v_sub_f16_e32 v58, v52, v20
	v_add_f16_e32 v59, v25, v52
	v_add_f16_e32 v52, v52, v20
	v_sub_f16_e32 v17, v17, v19
	v_add_f16_e32 v37, v16, v18
	v_sub_f16_e32 v18, v18, v33
	v_add_f16_e32 v47, v42, v27
	v_add_f16_e32 v56, v26, v21
	v_fmac_f16_e32 v24, -0.5, v30
	v_fmac_f16_e32 v39, -0.5, v36
	;; [unrolled: 1-line block ×4, first 2 shown]
	v_add_f16_e32 v48, v27, v22
	v_sub_f16_e32 v27, v27, v22
	v_sub_f16_e32 v21, v21, v23
	v_add_f16_e32 v19, v28, v19
	v_add_f16_e32 v28, v32, v49
	;; [unrolled: 1-line block ×3, first 2 shown]
	v_fmac_f16_e32 v41, -0.5, v29
	v_fmac_f16_e32 v26, -0.5, v57
	;; [unrolled: 1-line block ×3, first 2 shown]
	v_add_f16_e32 v22, v47, v22
	v_add_f16_e32 v23, v56, v23
	v_fmamk_f16 v29, v31, 0x3aee, v24
	v_fmac_f16_e32 v24, 0xbaee, v31
	v_fmamk_f16 v31, v17, 0xbaee, v39
	v_fmac_f16_e32 v39, 0x3aee, v17
	v_fmamk_f16 v17, v44, 0x3aee, v16
	v_fmamk_f16 v36, v18, 0xbaee, v55
	v_add_f16_e32 v30, v37, v33
	v_add_f16_e32 v33, v54, v53
	;; [unrolled: 1-line block ×3, first 2 shown]
	v_fmac_f16_e32 v16, 0xbaee, v44
	v_fmac_f16_e32 v55, 0x3aee, v18
	v_add_f16_e32 v37, v28, v32
	v_sub_f16_e32 v28, v28, v32
	v_fmamk_f16 v32, v27, 0xbaee, v41
	v_fmac_f16_e32 v41, 0x3aee, v27
	v_fmamk_f16 v27, v58, 0x3aee, v26
	v_fmamk_f16 v43, v21, 0xbaee, v25
	v_fmac_f16_e32 v42, -0.5, v48
	v_fmac_f16_e32 v26, 0xbaee, v58
	v_fmac_f16_e32 v25, 0x3aee, v21
	v_add_f16_e32 v21, v22, v23
	v_sub_f16_e32 v22, v22, v23
	v_mul_f16_e32 v23, 0x3aee, v36
	v_mul_f16_e32 v45, 0xbaee, v17
	v_add_f16_e32 v44, v33, v20
	v_sub_f16_e32 v20, v33, v20
	v_mul_f16_e32 v33, -0.5, v16
	v_mul_f16_e32 v46, -0.5, v55
	v_mul_f16_e32 v47, 0x3aee, v43
	v_mul_f16_e32 v49, 0xbaee, v27
	v_add_f16_e32 v18, v19, v30
	v_sub_f16_e32 v19, v19, v30
	v_fmamk_f16 v30, v50, 0x3aee, v42
	v_fmac_f16_e32 v42, 0xbaee, v50
	v_mul_f16_e32 v48, -0.5, v26
	v_mul_f16_e32 v50, -0.5, v25
	v_fmac_f16_e32 v23, 0.5, v17
	v_fmac_f16_e32 v45, 0.5, v36
	v_fmac_f16_e32 v33, 0x3aee, v55
	v_fmac_f16_e32 v46, 0xbaee, v16
	v_fmac_f16_e32 v47, 0.5, v27
	v_fmac_f16_e32 v49, 0.5, v43
	v_fmac_f16_e32 v48, 0x3aee, v25
	v_fmac_f16_e32 v50, 0xbaee, v26
	v_pack_b32_f16 v20, v22, v20
	v_add_f16_e32 v16, v29, v23
	v_add_f16_e32 v22, v31, v45
	;; [unrolled: 1-line block ×4, first 2 shown]
	v_sub_f16_e32 v23, v29, v23
	v_sub_f16_e32 v24, v24, v33
	;; [unrolled: 1-line block ×4, first 2 shown]
	v_pack_b32_f16 v19, v19, v28
	v_add_f16_e32 v28, v30, v47
	v_add_f16_e32 v31, v32, v49
	;; [unrolled: 1-line block ×4, first 2 shown]
	v_pack_b32_f16 v18, v18, v37
	v_sub_f16_e32 v30, v30, v47
	v_sub_f16_e32 v36, v42, v48
	;; [unrolled: 1-line block ×4, first 2 shown]
	v_pack_b32_f16 v16, v16, v22
	v_pack_b32_f16 v17, v17, v25
	;; [unrolled: 1-line block ×9, first 2 shown]
	ds_write2_b32 v8, v18, v16 offset1:36
	ds_write2_b32 v8, v17, v19 offset0:72 offset1:108
	ds_write2_b32 v8, v22, v23 offset0:144 offset1:180
	ds_write2_b32 v38, v21, v24 offset1:36
	ds_write2_b32 v38, v25, v20 offset0:72 offset1:108
	ds_write2_b32 v38, v26, v27 offset0:144 offset1:180
	v_add_co_u32 v24, s0, s12, v34
	s_waitcnt lgkmcnt(0)
	s_barrier
	buffer_gl0_inv
	global_load_dwordx4 v[16:19], v40, s[12:13] offset:840
	v_add_co_ci_u32_e64 v25, s0, s13, v35, s0
	s_clause 0x2
	global_load_dword v8, v40, s[12:13] offset:856
	global_load_dwordx4 v[20:23], v[24:25], off offset:840
	global_load_dword v32, v[24:25], off offset:856
	ds_read2_b32 v[24:25], v0 offset1:216
	ds_read_b32 v33, v11
	ds_read2_b32 v[26:27], v14 offset0:68 offset1:176
	ds_read2_b32 v[28:29], v10 offset0:28 offset1:136
	;; [unrolled: 1-line block ×4, first 2 shown]
	ds_read_b32 v10, v0 offset:4752
	v_add_nc_u32_e32 v15, 0x680, v0
	v_add_nc_u32_e32 v34, 0xd00, v0
	;; [unrolled: 1-line block ×4, first 2 shown]
	s_waitcnt vmcnt(0) lgkmcnt(0)
	s_barrier
	buffer_gl0_inv
	v_lshrrev_b32_e32 v44, 16, v25
	v_lshrrev_b32_e32 v37, 16, v24
	;; [unrolled: 1-line block ×12, first 2 shown]
	v_mul_f16_sdwa v49, v16, v44 dst_sel:DWORD dst_unused:UNUSED_PAD src0_sel:WORD_1 src1_sel:DWORD
	v_mul_f16_sdwa v50, v16, v25 dst_sel:DWORD dst_unused:UNUSED_PAD src0_sel:WORD_1 src1_sel:DWORD
	;; [unrolled: 1-line block ×10, first 2 shown]
	v_mul_f16_sdwa v60, v26, v20 dst_sel:DWORD dst_unused:UNUSED_PAD src0_sel:DWORD src1_sel:WORD_1
	v_fmac_f16_e32 v50, v16, v44
	v_fmac_f16_e32 v52, v17, v45
	v_mul_f16_sdwa v45, v28, v21 dst_sel:DWORD dst_unused:UNUSED_PAD src0_sel:DWORD src1_sel:WORD_1
	v_fmac_f16_e32 v54, v18, v46
	v_mul_f16_sdwa v46, v41, v22 dst_sel:DWORD dst_unused:UNUSED_PAD src0_sel:DWORD src1_sel:WORD_1
	;; [unrolled: 2-line block ×3, first 2 shown]
	v_fma_f16 v16, v16, v25, -v49
	v_fma_f16 v17, v17, v27, -v51
	;; [unrolled: 1-line block ×3, first 2 shown]
	v_mul_f16_sdwa v25, v30, v23 dst_sel:DWORD dst_unused:UNUSED_PAD src0_sel:DWORD src1_sel:WORD_1
	v_mul_f16_sdwa v27, v43, v32 dst_sel:DWORD dst_unused:UNUSED_PAD src0_sel:DWORD src1_sel:WORD_1
	;; [unrolled: 1-line block ×5, first 2 shown]
	v_fma_f16 v14, v19, v14, -v55
	v_mul_f16_sdwa v19, v42, v23 dst_sel:DWORD dst_unused:UNUSED_PAD src0_sel:DWORD src1_sel:WORD_1
	v_fma_f16 v31, v8, v31, -v57
	v_fmac_f16_e32 v58, v8, v48
	v_fmac_f16_e32 v60, v39, v20
	;; [unrolled: 1-line block ×3, first 2 shown]
	v_fma_f16 v13, v13, v22, -v46
	v_fmac_f16_e32 v47, v41, v22
	v_fmac_f16_e32 v25, v42, v23
	v_fma_f16 v10, v10, v32, -v27
	v_fmac_f16_e32 v29, v43, v32
	v_fma_f16 v8, v26, v20, -v59
	v_fma_f16 v20, v28, v21, -v44
	;; [unrolled: 1-line block ×3, first 2 shown]
	v_add_f16_e32 v22, v17, v14
	v_add_f16_e32 v27, v52, v56
	v_add_f16_e32 v30, v18, v31
	v_add_f16_e32 v40, v54, v58
	v_add_f16_e32 v21, v24, v17
	v_add_f16_e32 v26, v37, v52
	v_add_f16_e32 v39, v50, v54
	v_sub_f16_e32 v43, v45, v25
	v_add_f16_e32 v44, v38, v45
	v_add_f16_e32 v45, v45, v25
	;; [unrolled: 1-line block ×3, first 2 shown]
	v_sub_f16_e32 v49, v47, v29
	v_add_f16_e32 v51, v60, v47
	v_add_f16_e32 v47, v47, v29
	v_sub_f16_e32 v23, v52, v56
	v_sub_f16_e32 v17, v17, v14
	v_add_f16_e32 v28, v16, v18
	v_sub_f16_e32 v32, v54, v58
	v_sub_f16_e32 v18, v18, v31
	v_add_f16_e32 v41, v33, v20
	v_add_f16_e32 v46, v8, v13
	v_fmac_f16_e32 v24, -0.5, v22
	v_fmac_f16_e32 v37, -0.5, v27
	;; [unrolled: 1-line block ×4, first 2 shown]
	v_add_f16_e32 v42, v20, v19
	v_sub_f16_e32 v20, v20, v19
	v_sub_f16_e32 v13, v13, v10
	v_add_f16_e32 v14, v21, v14
	v_add_f16_e32 v21, v26, v56
	;; [unrolled: 1-line block ×3, first 2 shown]
	v_fmac_f16_e32 v38, -0.5, v45
	v_fmac_f16_e32 v8, -0.5, v48
	;; [unrolled: 1-line block ×3, first 2 shown]
	v_add_f16_e32 v22, v28, v31
	v_add_f16_e32 v19, v41, v19
	;; [unrolled: 1-line block ×5, first 2 shown]
	v_fmamk_f16 v28, v23, 0x3aee, v24
	v_fmac_f16_e32 v24, 0xbaee, v23
	v_fmamk_f16 v23, v17, 0xbaee, v37
	v_fmac_f16_e32 v37, 0x3aee, v17
	v_fmamk_f16 v17, v32, 0x3aee, v16
	v_fmamk_f16 v29, v18, 0xbaee, v50
	v_fmac_f16_e32 v16, 0xbaee, v32
	v_fmac_f16_e32 v50, 0x3aee, v18
	v_fmac_f16_e32 v33, -0.5, v42
	v_add_f16_e32 v30, v21, v26
	v_sub_f16_e32 v21, v21, v26
	v_fmamk_f16 v26, v20, 0xbaee, v38
	v_fmac_f16_e32 v38, 0x3aee, v20
	v_fmamk_f16 v20, v49, 0x3aee, v8
	v_fmamk_f16 v31, v13, 0xbaee, v60
	v_fmac_f16_e32 v8, 0xbaee, v49
	v_fmac_f16_e32 v60, 0x3aee, v13
	v_add_f16_e32 v13, v19, v10
	v_add_f16_e32 v32, v25, v27
	v_sub_f16_e32 v10, v19, v10
	v_sub_f16_e32 v19, v25, v27
	v_mul_f16_e32 v25, 0x3aee, v29
	v_mul_f16_e32 v39, 0xbaee, v17
	v_mul_f16_e32 v27, -0.5, v16
	v_mul_f16_e32 v40, -0.5, v50
	v_add_f16_e32 v18, v14, v22
	v_sub_f16_e32 v14, v14, v22
	v_fmamk_f16 v22, v43, 0x3aee, v33
	v_fmac_f16_e32 v33, 0xbaee, v43
	v_mul_f16_e32 v41, 0x3aee, v31
	v_mul_f16_e32 v43, 0xbaee, v20
	v_mul_f16_e32 v42, -0.5, v8
	v_mul_f16_e32 v44, -0.5, v60
	v_fmac_f16_e32 v25, 0.5, v17
	v_fmac_f16_e32 v39, 0.5, v29
	v_fmac_f16_e32 v27, 0x3aee, v50
	v_fmac_f16_e32 v40, 0xbaee, v16
	v_fmac_f16_e32 v41, 0.5, v20
	v_fmac_f16_e32 v43, 0.5, v31
	v_fmac_f16_e32 v42, 0x3aee, v60
	v_fmac_f16_e32 v44, 0xbaee, v8
	v_add_f16_e32 v8, v28, v25
	v_add_f16_e32 v17, v23, v39
	v_pack_b32_f16 v10, v10, v19
	v_add_f16_e32 v16, v24, v27
	v_add_f16_e32 v19, v37, v40
	v_pack_b32_f16 v14, v14, v21
	v_sub_f16_e32 v20, v28, v25
	v_sub_f16_e32 v21, v24, v27
	;; [unrolled: 1-line block ×4, first 2 shown]
	v_add_f16_e32 v25, v22, v41
	v_add_f16_e32 v28, v26, v43
	;; [unrolled: 1-line block ×4, first 2 shown]
	v_pack_b32_f16 v18, v18, v30
	v_sub_f16_e32 v22, v22, v41
	v_sub_f16_e32 v30, v33, v42
	;; [unrolled: 1-line block ×4, first 2 shown]
	v_pack_b32_f16 v8, v8, v17
	v_pack_b32_f16 v16, v16, v19
	;; [unrolled: 1-line block ×9, first 2 shown]
	ds_write2_b32 v0, v18, v8 offset1:216
	ds_write2_b32 v15, v16, v14 offset0:16 offset1:232
	ds_write2_b32 v34, v17, v19 offset0:32 offset1:248
	ds_write2_b32 v11, v13, v20 offset1:216
	ds_write2_b32 v35, v21, v10 offset0:16 offset1:232
	ds_write2_b32 v36, v22, v23 offset0:32 offset1:248
	s_waitcnt lgkmcnt(0)
	s_barrier
	buffer_gl0_inv
	ds_read_b32 v8, v0
	v_sub_nc_u32_e32 v13, 0, v4
                                        ; implicit-def: $vgpr16
                                        ; implicit-def: $vgpr15
                                        ; implicit-def: $vgpr14
                                        ; implicit-def: $vgpr10_vgpr11
	v_cmpx_ne_u32_e32 0, v3
	s_xor_b32 s5, exec_lo, s5
	s_cbranch_execz .LBB0_15
; %bb.14:
	v_mov_b32_e32 v4, v9
	v_lshlrev_b64 v[9:10], 2, v[3:4]
	v_add_co_u32 v9, s0, s1, v9
	v_add_co_ci_u32_e64 v10, s0, s4, v10, s0
	global_load_dword v9, v[9:10], off
	ds_read_b32 v10, v13 offset:5184
	s_waitcnt lgkmcnt(0)
	v_pk_add_f16 v11, v8, v10 neg_lo:[0,1] neg_hi:[0,1]
	v_pk_add_f16 v8, v10, v8
	v_bfi_b32 v10, 0xffff, v11, v8
	v_bfi_b32 v8, 0xffff, v8, v11
	v_pk_mul_f16 v10, v10, 0.5 op_sel_hi:[1,0]
	v_pk_mul_f16 v14, v8, 0.5 op_sel_hi:[1,0]
	s_waitcnt vmcnt(0)
	v_pk_mul_f16 v11, v9, v10 op_sel:[1,0]
	v_pk_mul_f16 v9, v9, v10 op_sel_hi:[0,1]
	v_pk_fma_f16 v8, v8, 0.5, v11 op_sel_hi:[1,0,1]
	v_sub_f16_e32 v10, v14, v11
	v_sub_f16_sdwa v11, v11, v14 dst_sel:DWORD dst_unused:UNUSED_PAD src0_sel:WORD_1 src1_sel:WORD_1
	v_pk_add_f16 v16, v8, v9 op_sel:[0,1] op_sel_hi:[1,0]
	v_pk_add_f16 v8, v8, v9 op_sel:[0,1] op_sel_hi:[1,0] neg_lo:[0,1] neg_hi:[0,1]
	v_sub_f16_sdwa v15, v10, v9 dst_sel:DWORD dst_unused:UNUSED_PAD src0_sel:DWORD src1_sel:WORD_1
	v_sub_f16_e32 v14, v11, v9
	v_mov_b32_e32 v11, v4
	v_mov_b32_e32 v10, v3
	v_bfi_b32 v16, 0xffff, v16, v8
                                        ; implicit-def: $vgpr8
.LBB0_15:
	s_or_saveexec_b32 s0, s5
	v_mul_i32_i24_e32 v4, 0xffffffec, v7
	s_xor_b32 exec_lo, exec_lo, s0
	s_cbranch_execz .LBB0_17
; %bb.16:
	v_mov_b32_e32 v14, 0
	s_waitcnt lgkmcnt(0)
	v_alignbit_b32 v10, s0, v8, 16
	v_sub_f16_sdwa v15, v8, v8 dst_sel:DWORD dst_unused:UNUSED_PAD src0_sel:DWORD src1_sel:WORD_1
	ds_read_u16 v9, v14 offset:2594
	v_pk_add_f16 v16, v10, v8
	v_mov_b32_e32 v10, 0
	v_mov_b32_e32 v11, 0
	v_pack_b32_f16 v16, v16, 0
	s_waitcnt lgkmcnt(0)
	v_xor_b32_e32 v8, 0x8000, v9
	ds_write_b16 v14, v8 offset:2594
.LBB0_17:
	s_or_b32 exec_lo, exec_lo, s0
	s_waitcnt lgkmcnt(0)
	v_mov_b32_e32 v8, 0
	v_lshlrev_b64 v[9:10], 2, v[10:11]
	v_add_nc_u32_e32 v4, v12, v4
	v_lshlrev_b64 v[17:18], 2, v[7:8]
	v_add_co_u32 v17, s0, s1, v17
	v_add_co_ci_u32_e64 v18, s0, s4, v18, s0
	v_add_co_u32 v9, s0, s1, v9
	v_add_co_ci_u32_e64 v10, s0, s4, v10, s0
	s_clause 0x3
	global_load_dword v7, v[17:18], off
	global_load_dword v11, v[9:10], off offset:864
	global_load_dword v17, v[9:10], off offset:1296
	;; [unrolled: 1-line block ×3, first 2 shown]
	v_add_co_u32 v9, s0, 0x800, v9
	v_add_co_ci_u32_e64 v10, s0, 0, v10, s0
	global_load_dword v9, v[9:10], off offset:112
	ds_write_b16 v13, v14 offset:5186
	ds_write_b32 v0, v16
	ds_write_b16 v13, v15 offset:5184
	ds_read_b32 v10, v13 offset:4752
	ds_read_b32 v12, v4
	s_waitcnt lgkmcnt(0)
	v_pk_add_f16 v14, v12, v10 neg_lo:[0,1] neg_hi:[0,1]
	v_pk_add_f16 v10, v12, v10
	v_bfi_b32 v12, 0xffff, v14, v10
	v_bfi_b32 v10, 0xffff, v10, v14
	v_pk_mul_f16 v12, v12, 0.5 op_sel_hi:[1,0]
	v_pk_mul_f16 v10, v10, 0.5 op_sel_hi:[1,0]
	s_waitcnt vmcnt(4)
	v_pk_fma_f16 v14, v7, v12, v10 op_sel:[1,0,0]
	v_pk_mul_f16 v15, v7, v12 op_sel_hi:[0,1]
	v_pk_fma_f16 v16, v7, v12, v10 op_sel:[1,0,0] neg_lo:[1,0,0] neg_hi:[1,0,0]
	v_pk_fma_f16 v7, v7, v12, v10 op_sel:[1,0,0] neg_lo:[0,0,1] neg_hi:[0,0,1]
	v_pk_add_f16 v10, v14, v15 op_sel:[0,1] op_sel_hi:[1,0]
	v_pk_add_f16 v12, v14, v15 op_sel:[0,1] op_sel_hi:[1,0] neg_lo:[0,1] neg_hi:[0,1]
	v_pk_add_f16 v14, v16, v15 op_sel:[0,1] op_sel_hi:[1,0] neg_lo:[0,1] neg_hi:[0,1]
	;; [unrolled: 1-line block ×3, first 2 shown]
	v_bfi_b32 v10, 0xffff, v10, v12
	v_bfi_b32 v7, 0xffff, v14, v7
	ds_write_b32 v4, v10
	ds_write_b32 v13, v7 offset:4752
	ds_read_b32 v4, v0 offset:864
	ds_read_b32 v7, v13 offset:4320
	s_waitcnt lgkmcnt(0)
	v_pk_add_f16 v10, v4, v7 neg_lo:[0,1] neg_hi:[0,1]
	v_pk_add_f16 v4, v4, v7
	v_bfi_b32 v7, 0xffff, v10, v4
	v_bfi_b32 v4, 0xffff, v4, v10
	v_pk_mul_f16 v7, v7, 0.5 op_sel_hi:[1,0]
	v_pk_mul_f16 v4, v4, 0.5 op_sel_hi:[1,0]
	s_waitcnt vmcnt(3)
	v_pk_mul_f16 v12, v11, v7 op_sel_hi:[0,1]
	v_pk_fma_f16 v10, v11, v7, v4 op_sel:[1,0,0]
	v_pk_fma_f16 v14, v11, v7, v4 op_sel:[1,0,0] neg_lo:[1,0,0] neg_hi:[1,0,0]
	v_pk_fma_f16 v4, v11, v7, v4 op_sel:[1,0,0] neg_lo:[0,0,1] neg_hi:[0,0,1]
	v_pk_add_f16 v7, v10, v12 op_sel:[0,1] op_sel_hi:[1,0]
	v_pk_add_f16 v10, v10, v12 op_sel:[0,1] op_sel_hi:[1,0] neg_lo:[0,1] neg_hi:[0,1]
	v_pk_add_f16 v11, v14, v12 op_sel:[0,1] op_sel_hi:[1,0] neg_lo:[0,1] neg_hi:[0,1]
	;; [unrolled: 1-line block ×3, first 2 shown]
	v_bfi_b32 v7, 0xffff, v7, v10
	v_bfi_b32 v4, 0xffff, v11, v4
	ds_write_b32 v0, v7 offset:864
	ds_write_b32 v13, v4 offset:4320
	ds_read_b32 v4, v0 offset:1296
	ds_read_b32 v7, v13 offset:3888
	s_waitcnt lgkmcnt(0)
	v_pk_add_f16 v10, v4, v7 neg_lo:[0,1] neg_hi:[0,1]
	v_pk_add_f16 v4, v4, v7
	v_bfi_b32 v7, 0xffff, v10, v4
	v_bfi_b32 v4, 0xffff, v4, v10
	v_pk_mul_f16 v7, v7, 0.5 op_sel_hi:[1,0]
	v_pk_mul_f16 v11, v4, 0.5 op_sel_hi:[1,0]
	s_waitcnt vmcnt(2)
	v_pk_mul_f16 v10, v17, v7 op_sel:[1,0]
	v_pk_mul_f16 v7, v17, v7 op_sel_hi:[0,1]
	v_pk_fma_f16 v4, v4, 0.5, v10 op_sel_hi:[1,0,1]
	v_sub_f16_sdwa v12, v10, v11 dst_sel:DWORD dst_unused:UNUSED_PAD src0_sel:WORD_1 src1_sel:WORD_1
	v_sub_f16_e32 v10, v11, v10
	v_pk_add_f16 v14, v4, v7 op_sel:[0,1] op_sel_hi:[1,0]
	v_pk_add_f16 v4, v4, v7 op_sel:[0,1] op_sel_hi:[1,0] neg_lo:[0,1] neg_hi:[0,1]
	v_sub_f16_e32 v11, v12, v7
	v_sub_f16_sdwa v7, v10, v7 dst_sel:DWORD dst_unused:UNUSED_PAD src0_sel:DWORD src1_sel:WORD_1
	v_bfi_b32 v4, 0xffff, v14, v4
	ds_write_b16 v13, v11 offset:3890
	ds_write_b32 v0, v4 offset:1296
	ds_write_b16 v13, v7 offset:3888
	ds_read_b32 v4, v0 offset:1728
	ds_read_b32 v7, v13 offset:3456
	s_waitcnt lgkmcnt(0)
	v_pk_add_f16 v10, v4, v7 neg_lo:[0,1] neg_hi:[0,1]
	v_pk_add_f16 v4, v4, v7
	v_bfi_b32 v7, 0xffff, v10, v4
	v_bfi_b32 v4, 0xffff, v4, v10
	v_pk_mul_f16 v7, v7, 0.5 op_sel_hi:[1,0]
	v_pk_mul_f16 v4, v4, 0.5 op_sel_hi:[1,0]
	s_waitcnt vmcnt(1)
	v_pk_mul_f16 v11, v18, v7 op_sel_hi:[0,1]
	v_pk_fma_f16 v10, v18, v7, v4 op_sel:[1,0,0]
	v_pk_fma_f16 v12, v18, v7, v4 op_sel:[1,0,0] neg_lo:[1,0,0] neg_hi:[1,0,0]
	v_pk_fma_f16 v4, v18, v7, v4 op_sel:[1,0,0] neg_lo:[0,0,1] neg_hi:[0,0,1]
	v_pk_add_f16 v7, v10, v11 op_sel:[0,1] op_sel_hi:[1,0]
	v_pk_add_f16 v10, v10, v11 op_sel:[0,1] op_sel_hi:[1,0] neg_lo:[0,1] neg_hi:[0,1]
	v_pk_add_f16 v12, v12, v11 op_sel:[0,1] op_sel_hi:[1,0] neg_lo:[0,1] neg_hi:[0,1]
	;; [unrolled: 1-line block ×3, first 2 shown]
	v_bfi_b32 v7, 0xffff, v7, v10
	v_bfi_b32 v4, 0xffff, v12, v4
	ds_write_b32 v0, v7 offset:1728
	ds_write_b32 v13, v4 offset:3456
	ds_read_b32 v4, v0 offset:2160
	ds_read_b32 v7, v13 offset:3024
	s_waitcnt lgkmcnt(0)
	v_pk_add_f16 v10, v4, v7 neg_lo:[0,1] neg_hi:[0,1]
	v_pk_add_f16 v4, v4, v7
	v_bfi_b32 v7, 0xffff, v10, v4
	v_bfi_b32 v4, 0xffff, v4, v10
	v_pk_mul_f16 v7, v7, 0.5 op_sel_hi:[1,0]
	v_pk_mul_f16 v4, v4, 0.5 op_sel_hi:[1,0]
	s_waitcnt vmcnt(0)
	v_pk_mul_f16 v11, v9, v7 op_sel_hi:[0,1]
	v_pk_fma_f16 v10, v9, v7, v4 op_sel:[1,0,0]
	v_pk_fma_f16 v12, v9, v7, v4 op_sel:[1,0,0] neg_lo:[1,0,0] neg_hi:[1,0,0]
	v_pk_fma_f16 v4, v9, v7, v4 op_sel:[1,0,0] neg_lo:[0,0,1] neg_hi:[0,0,1]
	v_pk_add_f16 v7, v10, v11 op_sel:[0,1] op_sel_hi:[1,0]
	v_pk_add_f16 v9, v10, v11 op_sel:[0,1] op_sel_hi:[1,0] neg_lo:[0,1] neg_hi:[0,1]
	v_pk_add_f16 v10, v12, v11 op_sel:[0,1] op_sel_hi:[1,0] neg_lo:[0,1] neg_hi:[0,1]
	;; [unrolled: 1-line block ×3, first 2 shown]
	v_bfi_b32 v7, 0xffff, v7, v9
	v_bfi_b32 v4, 0xffff, v10, v4
	ds_write_b32 v0, v7 offset:2160
	ds_write_b32 v13, v4 offset:3024
	s_waitcnt lgkmcnt(0)
	s_barrier
	buffer_gl0_inv
	s_and_saveexec_b32 s0, vcc_lo
	s_cbranch_execz .LBB0_20
; %bb.18:
	v_mul_lo_u32 v0, s3, v5
	v_mul_lo_u32 v4, s2, v6
	v_mad_u64_u32 v[5:6], null, s2, v5, 0
	v_lshl_add_u32 v23, v3, 2, 0
	v_add_nc_u32_e32 v7, 0x6c, v3
	ds_read2_b32 v[9:10], v23 offset1:108
	v_add3_u32 v6, v6, v4, v0
	v_mov_b32_e32 v4, v8
	v_lshlrev_b64 v[0:1], 2, v[1:2]
	v_lshlrev_b64 v[13:14], 2, v[7:8]
	v_add_nc_u32_e32 v7, 0xd8, v3
	v_lshlrev_b64 v[5:6], 2, v[5:6]
	v_lshlrev_b64 v[11:12], 2, v[3:4]
	v_add_co_u32 v2, vcc_lo, s10, v5
	v_add_co_ci_u32_e32 v4, vcc_lo, s11, v6, vcc_lo
	v_add_nc_u32_e32 v6, 0x1000, v23
	v_add_co_u32 v0, vcc_lo, v2, v0
	v_add_co_ci_u32_e32 v1, vcc_lo, v4, v1, vcc_lo
	v_add_nc_u32_e32 v2, 0x200, v23
	v_add_co_u32 v4, vcc_lo, v0, v11
	v_add_co_ci_u32_e32 v5, vcc_lo, v1, v12, vcc_lo
	v_add_co_u32 v11, vcc_lo, v0, v13
	v_add_co_ci_u32_e32 v12, vcc_lo, v1, v14, vcc_lo
	v_lshlrev_b64 v[13:14], 2, v[7:8]
	v_add_nc_u32_e32 v7, 0x144, v3
	s_waitcnt lgkmcnt(0)
	global_store_dword v[4:5], v9, off
	global_store_dword v[11:12], v10, off
	ds_read2_b32 v[4:5], v2 offset0:88 offset1:196
	v_add_nc_u32_e32 v2, 0x600, v23
	v_lshlrev_b64 v[9:10], 2, v[7:8]
	v_add_nc_u32_e32 v7, 0x1b0, v3
	v_add_co_u32 v11, vcc_lo, v0, v13
	v_add_co_ci_u32_e32 v12, vcc_lo, v1, v14, vcc_lo
	ds_read2_b32 v[13:14], v2 offset0:48 offset1:156
	v_lshlrev_b64 v[15:16], 2, v[7:8]
	v_add_nc_u32_e32 v7, 0x21c, v3
	v_add_nc_u32_e32 v2, 0x800, v23
	v_add_co_u32 v9, vcc_lo, v0, v9
	v_add_co_ci_u32_e32 v10, vcc_lo, v1, v10, vcc_lo
	v_lshlrev_b64 v[17:18], 2, v[7:8]
	v_add_nc_u32_e32 v7, 0x288, v3
	ds_read2_b32 v[19:20], v2 offset0:136 offset1:244
	v_add_co_u32 v15, vcc_lo, v0, v15
	v_add_co_ci_u32_e32 v16, vcc_lo, v1, v16, vcc_lo
	v_lshlrev_b64 v[21:22], 2, v[7:8]
	v_add_nc_u32_e32 v7, 0x2f4, v3
	v_add_co_u32 v17, vcc_lo, v0, v17
	v_add_co_ci_u32_e32 v18, vcc_lo, v1, v18, vcc_lo
	s_waitcnt lgkmcnt(2)
	global_store_dword v[11:12], v4, off
	global_store_dword v[9:10], v5, off
	s_waitcnt lgkmcnt(1)
	global_store_dword v[15:16], v13, off
	global_store_dword v[17:18], v14, off
	v_lshlrev_b64 v[4:5], 2, v[7:8]
	v_add_nc_u32_e32 v7, 0x360, v3
	v_add_co_u32 v9, vcc_lo, v0, v21
	v_add_co_ci_u32_e32 v10, vcc_lo, v1, v22, vcc_lo
	v_lshlrev_b64 v[11:12], 2, v[7:8]
	v_add_nc_u32_e32 v7, 0x3cc, v3
	v_add_co_u32 v4, vcc_lo, v0, v4
	v_add_co_ci_u32_e32 v5, vcc_lo, v1, v5, vcc_lo
	v_add_nc_u32_e32 v2, 0xc00, v23
	s_waitcnt lgkmcnt(0)
	global_store_dword v[9:10], v19, off
	v_lshlrev_b64 v[9:10], 2, v[7:8]
	v_add_nc_u32_e32 v7, 0x438, v3
	global_store_dword v[4:5], v20, off
	ds_read2_b32 v[4:5], v2 offset0:96 offset1:204
	ds_read2_b32 v[13:14], v6 offset0:56 offset1:164
	v_add_co_u32 v11, vcc_lo, v0, v11
	v_lshlrev_b64 v[15:16], 2, v[7:8]
	v_add_nc_u32_e32 v7, 0x4a4, v3
	v_add_co_ci_u32_e32 v12, vcc_lo, v1, v12, vcc_lo
	v_add_co_u32 v9, vcc_lo, v0, v9
	v_lshlrev_b64 v[6:7], 2, v[7:8]
	v_add_co_ci_u32_e32 v10, vcc_lo, v1, v10, vcc_lo
	v_add_co_u32 v15, vcc_lo, v0, v15
	v_add_co_ci_u32_e32 v16, vcc_lo, v1, v16, vcc_lo
	v_add_co_u32 v6, vcc_lo, v0, v6
	v_add_co_ci_u32_e32 v7, vcc_lo, v1, v7, vcc_lo
	v_cmp_eq_u32_e32 vcc_lo, 0x6b, v3
	s_waitcnt lgkmcnt(1)
	global_store_dword v[11:12], v4, off
	global_store_dword v[9:10], v5, off
	s_waitcnt lgkmcnt(0)
	global_store_dword v[15:16], v13, off
	global_store_dword v[6:7], v14, off
	s_and_b32 exec_lo, exec_lo, vcc_lo
	s_cbranch_execz .LBB0_20
; %bb.19:
	v_mov_b32_e32 v2, 0
	v_add_co_u32 v0, vcc_lo, 0x1000, v0
	v_add_co_ci_u32_e32 v1, vcc_lo, 0, v1, vcc_lo
	ds_read_b32 v2, v2 offset:5184
	s_waitcnt lgkmcnt(0)
	global_store_dword v[0:1], v2, off offset:1088
.LBB0_20:
	s_endpgm
	.section	.rodata,"a",@progbits
	.p2align	6, 0x0
	.amdhsa_kernel fft_rtc_fwd_len1296_factors_6_6_6_6_wgs_108_tpt_108_halfLds_half_op_CI_CI_unitstride_sbrr_R2C_dirReg
		.amdhsa_group_segment_fixed_size 0
		.amdhsa_private_segment_fixed_size 0
		.amdhsa_kernarg_size 104
		.amdhsa_user_sgpr_count 6
		.amdhsa_user_sgpr_private_segment_buffer 1
		.amdhsa_user_sgpr_dispatch_ptr 0
		.amdhsa_user_sgpr_queue_ptr 0
		.amdhsa_user_sgpr_kernarg_segment_ptr 1
		.amdhsa_user_sgpr_dispatch_id 0
		.amdhsa_user_sgpr_flat_scratch_init 0
		.amdhsa_user_sgpr_private_segment_size 0
		.amdhsa_wavefront_size32 1
		.amdhsa_uses_dynamic_stack 0
		.amdhsa_system_sgpr_private_segment_wavefront_offset 0
		.amdhsa_system_sgpr_workgroup_id_x 1
		.amdhsa_system_sgpr_workgroup_id_y 0
		.amdhsa_system_sgpr_workgroup_id_z 0
		.amdhsa_system_sgpr_workgroup_info 0
		.amdhsa_system_vgpr_workitem_id 0
		.amdhsa_next_free_vgpr 62
		.amdhsa_next_free_sgpr 27
		.amdhsa_reserve_vcc 1
		.amdhsa_reserve_flat_scratch 0
		.amdhsa_float_round_mode_32 0
		.amdhsa_float_round_mode_16_64 0
		.amdhsa_float_denorm_mode_32 3
		.amdhsa_float_denorm_mode_16_64 3
		.amdhsa_dx10_clamp 1
		.amdhsa_ieee_mode 1
		.amdhsa_fp16_overflow 0
		.amdhsa_workgroup_processor_mode 1
		.amdhsa_memory_ordered 1
		.amdhsa_forward_progress 0
		.amdhsa_shared_vgpr_count 0
		.amdhsa_exception_fp_ieee_invalid_op 0
		.amdhsa_exception_fp_denorm_src 0
		.amdhsa_exception_fp_ieee_div_zero 0
		.amdhsa_exception_fp_ieee_overflow 0
		.amdhsa_exception_fp_ieee_underflow 0
		.amdhsa_exception_fp_ieee_inexact 0
		.amdhsa_exception_int_div_zero 0
	.end_amdhsa_kernel
	.text
.Lfunc_end0:
	.size	fft_rtc_fwd_len1296_factors_6_6_6_6_wgs_108_tpt_108_halfLds_half_op_CI_CI_unitstride_sbrr_R2C_dirReg, .Lfunc_end0-fft_rtc_fwd_len1296_factors_6_6_6_6_wgs_108_tpt_108_halfLds_half_op_CI_CI_unitstride_sbrr_R2C_dirReg
                                        ; -- End function
	.section	.AMDGPU.csdata,"",@progbits
; Kernel info:
; codeLenInByte = 8156
; NumSgprs: 29
; NumVgprs: 62
; ScratchSize: 0
; MemoryBound: 0
; FloatMode: 240
; IeeeMode: 1
; LDSByteSize: 0 bytes/workgroup (compile time only)
; SGPRBlocks: 3
; VGPRBlocks: 7
; NumSGPRsForWavesPerEU: 29
; NumVGPRsForWavesPerEU: 62
; Occupancy: 16
; WaveLimiterHint : 1
; COMPUTE_PGM_RSRC2:SCRATCH_EN: 0
; COMPUTE_PGM_RSRC2:USER_SGPR: 6
; COMPUTE_PGM_RSRC2:TRAP_HANDLER: 0
; COMPUTE_PGM_RSRC2:TGID_X_EN: 1
; COMPUTE_PGM_RSRC2:TGID_Y_EN: 0
; COMPUTE_PGM_RSRC2:TGID_Z_EN: 0
; COMPUTE_PGM_RSRC2:TIDIG_COMP_CNT: 0
	.text
	.p2alignl 6, 3214868480
	.fill 48, 4, 3214868480
	.type	__hip_cuid_8d723e16ccb5a4aa,@object ; @__hip_cuid_8d723e16ccb5a4aa
	.section	.bss,"aw",@nobits
	.globl	__hip_cuid_8d723e16ccb5a4aa
__hip_cuid_8d723e16ccb5a4aa:
	.byte	0                               ; 0x0
	.size	__hip_cuid_8d723e16ccb5a4aa, 1

	.ident	"AMD clang version 19.0.0git (https://github.com/RadeonOpenCompute/llvm-project roc-6.4.0 25133 c7fe45cf4b819c5991fe208aaa96edf142730f1d)"
	.section	".note.GNU-stack","",@progbits
	.addrsig
	.addrsig_sym __hip_cuid_8d723e16ccb5a4aa
	.amdgpu_metadata
---
amdhsa.kernels:
  - .args:
      - .actual_access:  read_only
        .address_space:  global
        .offset:         0
        .size:           8
        .value_kind:     global_buffer
      - .offset:         8
        .size:           8
        .value_kind:     by_value
      - .actual_access:  read_only
        .address_space:  global
        .offset:         16
        .size:           8
        .value_kind:     global_buffer
      - .actual_access:  read_only
        .address_space:  global
        .offset:         24
        .size:           8
        .value_kind:     global_buffer
      - .actual_access:  read_only
        .address_space:  global
        .offset:         32
        .size:           8
        .value_kind:     global_buffer
      - .offset:         40
        .size:           8
        .value_kind:     by_value
      - .actual_access:  read_only
        .address_space:  global
        .offset:         48
        .size:           8
        .value_kind:     global_buffer
      - .actual_access:  read_only
        .address_space:  global
        .offset:         56
        .size:           8
        .value_kind:     global_buffer
      - .offset:         64
        .size:           4
        .value_kind:     by_value
      - .actual_access:  read_only
        .address_space:  global
        .offset:         72
        .size:           8
        .value_kind:     global_buffer
      - .actual_access:  read_only
        .address_space:  global
        .offset:         80
        .size:           8
        .value_kind:     global_buffer
      - .actual_access:  read_only
        .address_space:  global
        .offset:         88
        .size:           8
        .value_kind:     global_buffer
      - .actual_access:  write_only
        .address_space:  global
        .offset:         96
        .size:           8
        .value_kind:     global_buffer
    .group_segment_fixed_size: 0
    .kernarg_segment_align: 8
    .kernarg_segment_size: 104
    .language:       OpenCL C
    .language_version:
      - 2
      - 0
    .max_flat_workgroup_size: 108
    .name:           fft_rtc_fwd_len1296_factors_6_6_6_6_wgs_108_tpt_108_halfLds_half_op_CI_CI_unitstride_sbrr_R2C_dirReg
    .private_segment_fixed_size: 0
    .sgpr_count:     29
    .sgpr_spill_count: 0
    .symbol:         fft_rtc_fwd_len1296_factors_6_6_6_6_wgs_108_tpt_108_halfLds_half_op_CI_CI_unitstride_sbrr_R2C_dirReg.kd
    .uniform_work_group_size: 1
    .uses_dynamic_stack: false
    .vgpr_count:     62
    .vgpr_spill_count: 0
    .wavefront_size: 32
    .workgroup_processor_mode: 1
amdhsa.target:   amdgcn-amd-amdhsa--gfx1030
amdhsa.version:
  - 1
  - 2
...

	.end_amdgpu_metadata
